;; amdgpu-corpus repo=ROCm/rocFFT kind=compiled arch=gfx950 opt=O3
	.text
	.amdgcn_target "amdgcn-amd-amdhsa--gfx950"
	.amdhsa_code_object_version 6
	.protected	fft_rtc_back_len1331_factors_11_11_11_wgs_242_tpt_121_halfLds_sp_ip_CI_unitstride_sbrr_dirReg ; -- Begin function fft_rtc_back_len1331_factors_11_11_11_wgs_242_tpt_121_halfLds_sp_ip_CI_unitstride_sbrr_dirReg
	.globl	fft_rtc_back_len1331_factors_11_11_11_wgs_242_tpt_121_halfLds_sp_ip_CI_unitstride_sbrr_dirReg
	.p2align	8
	.type	fft_rtc_back_len1331_factors_11_11_11_wgs_242_tpt_121_halfLds_sp_ip_CI_unitstride_sbrr_dirReg,@function
fft_rtc_back_len1331_factors_11_11_11_wgs_242_tpt_121_halfLds_sp_ip_CI_unitstride_sbrr_dirReg: ; @fft_rtc_back_len1331_factors_11_11_11_wgs_242_tpt_121_halfLds_sp_ip_CI_unitstride_sbrr_dirReg
; %bb.0:
	s_load_dwordx2 s[8:9], s[0:1], 0x50
	s_load_dwordx4 s[4:7], s[0:1], 0x0
	s_load_dwordx2 s[10:11], s[0:1], 0x18
	v_mul_u32_u24_e32 v1, 0x21e, v0
	v_lshrrev_b32_e32 v28, 16, v1
	v_lshl_add_u32 v6, s2, 1, v28
	v_mov_b32_e32 v4, 0
	s_waitcnt lgkmcnt(0)
	v_cmp_lt_u64_e64 s[2:3], s[6:7], 2
	v_mov_b32_e32 v7, v4
	s_and_b64 vcc, exec, s[2:3]
	v_mov_b64_e32 v[2:3], 0
	s_cbranch_vccnz .LBB0_8
; %bb.1:
	s_load_dwordx2 s[2:3], s[0:1], 0x10
	s_add_u32 s12, s10, 8
	s_addc_u32 s13, s11, 0
	s_mov_b64 s[14:15], 1
	v_mov_b64_e32 v[2:3], 0
	s_waitcnt lgkmcnt(0)
	s_add_u32 s16, s2, 8
	s_addc_u32 s17, s3, 0
.LBB0_2:                                ; =>This Inner Loop Header: Depth=1
	s_load_dwordx2 s[18:19], s[16:17], 0x0
                                        ; implicit-def: $vgpr8_vgpr9
	s_waitcnt lgkmcnt(0)
	v_or_b32_e32 v5, s19, v7
	v_cmp_ne_u64_e32 vcc, 0, v[4:5]
	s_and_saveexec_b64 s[2:3], vcc
	s_xor_b64 s[20:21], exec, s[2:3]
	s_cbranch_execz .LBB0_4
; %bb.3:                                ;   in Loop: Header=BB0_2 Depth=1
	v_cvt_f32_u32_e32 v1, s18
	v_cvt_f32_u32_e32 v5, s19
	s_sub_u32 s2, 0, s18
	s_subb_u32 s3, 0, s19
	v_fmac_f32_e32 v1, 0x4f800000, v5
	v_rcp_f32_e32 v1, v1
	s_nop 0
	v_mul_f32_e32 v1, 0x5f7ffffc, v1
	v_mul_f32_e32 v5, 0x2f800000, v1
	v_trunc_f32_e32 v5, v5
	v_fmac_f32_e32 v1, 0xcf800000, v5
	v_cvt_u32_f32_e32 v5, v5
	v_cvt_u32_f32_e32 v1, v1
	v_mul_lo_u32 v8, s2, v5
	v_mul_hi_u32 v10, s2, v1
	v_mul_lo_u32 v9, s3, v1
	v_add_u32_e32 v10, v10, v8
	v_mul_lo_u32 v12, s2, v1
	v_add_u32_e32 v13, v10, v9
	v_mul_hi_u32 v8, v1, v12
	v_mul_hi_u32 v11, v1, v13
	v_mul_lo_u32 v10, v1, v13
	v_mov_b32_e32 v9, v4
	v_lshl_add_u64 v[8:9], v[8:9], 0, v[10:11]
	v_mul_hi_u32 v11, v5, v12
	v_mul_lo_u32 v12, v5, v12
	v_add_co_u32_e32 v8, vcc, v8, v12
	v_mul_hi_u32 v10, v5, v13
	s_nop 0
	v_addc_co_u32_e32 v8, vcc, v9, v11, vcc
	v_mov_b32_e32 v9, v4
	s_nop 0
	v_addc_co_u32_e32 v11, vcc, 0, v10, vcc
	v_mul_lo_u32 v10, v5, v13
	v_lshl_add_u64 v[8:9], v[8:9], 0, v[10:11]
	v_add_co_u32_e32 v1, vcc, v1, v8
	v_mul_lo_u32 v10, s2, v1
	s_nop 0
	v_addc_co_u32_e32 v5, vcc, v5, v9, vcc
	v_mul_lo_u32 v8, s2, v5
	v_mul_hi_u32 v9, s2, v1
	v_add_u32_e32 v8, v9, v8
	v_mul_lo_u32 v9, s3, v1
	v_add_u32_e32 v12, v8, v9
	v_mul_hi_u32 v14, v5, v10
	v_mul_lo_u32 v15, v5, v10
	v_mul_hi_u32 v9, v1, v12
	v_mul_lo_u32 v8, v1, v12
	v_mul_hi_u32 v10, v1, v10
	v_mov_b32_e32 v11, v4
	v_lshl_add_u64 v[8:9], v[10:11], 0, v[8:9]
	v_add_co_u32_e32 v8, vcc, v8, v15
	v_mul_hi_u32 v13, v5, v12
	s_nop 0
	v_addc_co_u32_e32 v8, vcc, v9, v14, vcc
	v_mul_lo_u32 v10, v5, v12
	s_nop 0
	v_addc_co_u32_e32 v11, vcc, 0, v13, vcc
	v_mov_b32_e32 v9, v4
	v_lshl_add_u64 v[8:9], v[8:9], 0, v[10:11]
	v_add_co_u32_e32 v1, vcc, v1, v8
	v_mul_hi_u32 v10, v6, v1
	s_nop 0
	v_addc_co_u32_e32 v5, vcc, v5, v9, vcc
	v_mad_u64_u32 v[8:9], s[2:3], v6, v5, 0
	v_mov_b32_e32 v11, v4
	v_lshl_add_u64 v[8:9], v[10:11], 0, v[8:9]
	v_mad_u64_u32 v[12:13], s[2:3], v7, v1, 0
	v_add_co_u32_e32 v1, vcc, v8, v12
	v_mad_u64_u32 v[10:11], s[2:3], v7, v5, 0
	s_nop 0
	v_addc_co_u32_e32 v8, vcc, v9, v13, vcc
	v_mov_b32_e32 v9, v4
	s_nop 0
	v_addc_co_u32_e32 v11, vcc, 0, v11, vcc
	v_lshl_add_u64 v[8:9], v[8:9], 0, v[10:11]
	v_mul_lo_u32 v1, s19, v8
	v_mul_lo_u32 v5, s18, v9
	v_mad_u64_u32 v[10:11], s[2:3], s18, v8, 0
	v_add3_u32 v1, v11, v5, v1
	v_sub_u32_e32 v5, v7, v1
	v_mov_b32_e32 v11, s19
	v_sub_co_u32_e32 v14, vcc, v6, v10
	v_lshl_add_u64 v[12:13], v[8:9], 0, 1
	s_nop 0
	v_subb_co_u32_e64 v5, s[2:3], v5, v11, vcc
	v_subrev_co_u32_e64 v10, s[2:3], s18, v14
	v_subb_co_u32_e32 v1, vcc, v7, v1, vcc
	s_nop 0
	v_subbrev_co_u32_e64 v5, s[2:3], 0, v5, s[2:3]
	v_cmp_le_u32_e64 s[2:3], s19, v5
	v_cmp_le_u32_e32 vcc, s19, v1
	s_nop 0
	v_cndmask_b32_e64 v11, 0, -1, s[2:3]
	v_cmp_le_u32_e64 s[2:3], s18, v10
	s_nop 1
	v_cndmask_b32_e64 v10, 0, -1, s[2:3]
	v_cmp_eq_u32_e64 s[2:3], s19, v5
	s_nop 1
	v_cndmask_b32_e64 v5, v11, v10, s[2:3]
	v_lshl_add_u64 v[10:11], v[8:9], 0, 2
	v_cmp_ne_u32_e64 s[2:3], 0, v5
	s_nop 1
	v_cndmask_b32_e64 v5, v13, v11, s[2:3]
	v_cndmask_b32_e64 v11, 0, -1, vcc
	v_cmp_le_u32_e32 vcc, s18, v14
	s_nop 1
	v_cndmask_b32_e64 v13, 0, -1, vcc
	v_cmp_eq_u32_e32 vcc, s19, v1
	s_nop 1
	v_cndmask_b32_e32 v1, v11, v13, vcc
	v_cmp_ne_u32_e32 vcc, 0, v1
	v_cndmask_b32_e64 v1, v12, v10, s[2:3]
	s_nop 0
	v_cndmask_b32_e32 v9, v9, v5, vcc
	v_cndmask_b32_e32 v8, v8, v1, vcc
.LBB0_4:                                ;   in Loop: Header=BB0_2 Depth=1
	s_andn2_saveexec_b64 s[2:3], s[20:21]
	s_cbranch_execz .LBB0_6
; %bb.5:                                ;   in Loop: Header=BB0_2 Depth=1
	v_cvt_f32_u32_e32 v1, s18
	s_sub_i32 s20, 0, s18
	v_rcp_iflag_f32_e32 v1, v1
	s_nop 0
	v_mul_f32_e32 v1, 0x4f7ffffe, v1
	v_cvt_u32_f32_e32 v1, v1
	v_mul_lo_u32 v5, s20, v1
	v_mul_hi_u32 v5, v1, v5
	v_add_u32_e32 v1, v1, v5
	v_mul_hi_u32 v1, v6, v1
	v_mul_lo_u32 v5, v1, s18
	v_sub_u32_e32 v5, v6, v5
	v_add_u32_e32 v8, 1, v1
	v_subrev_u32_e32 v9, s18, v5
	v_cmp_le_u32_e32 vcc, s18, v5
	s_nop 1
	v_cndmask_b32_e32 v5, v5, v9, vcc
	v_cndmask_b32_e32 v1, v1, v8, vcc
	v_add_u32_e32 v8, 1, v1
	v_cmp_le_u32_e32 vcc, s18, v5
	v_mov_b32_e32 v9, v4
	s_nop 0
	v_cndmask_b32_e32 v8, v1, v8, vcc
.LBB0_6:                                ;   in Loop: Header=BB0_2 Depth=1
	s_or_b64 exec, exec, s[2:3]
	v_mad_u64_u32 v[10:11], s[2:3], v8, s18, 0
	s_load_dwordx2 s[2:3], s[12:13], 0x0
	v_mul_lo_u32 v1, v9, s18
	v_mul_lo_u32 v5, v8, s19
	v_add3_u32 v1, v11, v5, v1
	v_sub_co_u32_e32 v5, vcc, v6, v10
	s_add_u32 s14, s14, 1
	s_nop 0
	v_subb_co_u32_e32 v1, vcc, v7, v1, vcc
	s_addc_u32 s15, s15, 0
	s_waitcnt lgkmcnt(0)
	v_mul_lo_u32 v1, s2, v1
	v_mul_lo_u32 v6, s3, v5
	v_mad_u64_u32 v[2:3], s[2:3], s2, v5, v[2:3]
	s_add_u32 s12, s12, 8
	v_add3_u32 v3, v6, v3, v1
	s_addc_u32 s13, s13, 0
	v_mov_b64_e32 v[6:7], s[6:7]
	s_add_u32 s16, s16, 8
	v_cmp_ge_u64_e32 vcc, s[14:15], v[6:7]
	s_addc_u32 s17, s17, 0
	s_cbranch_vccnz .LBB0_9
; %bb.7:                                ;   in Loop: Header=BB0_2 Depth=1
	v_mov_b64_e32 v[6:7], v[8:9]
	s_branch .LBB0_2
.LBB0_8:
	v_mov_b64_e32 v[8:9], v[6:7]
.LBB0_9:
	s_lshl_b64 s[2:3], s[6:7], 3
	s_add_u32 s2, s10, s2
	s_addc_u32 s3, s11, s3
	s_load_dwordx2 s[6:7], s[2:3], 0x0
	s_load_dwordx2 s[10:11], s[0:1], 0x20
	s_mov_b32 s2, 0x21d9eae
                                        ; implicit-def: $vgpr24
                                        ; implicit-def: $vgpr22
                                        ; implicit-def: $vgpr26
                                        ; implicit-def: $vgpr18
                                        ; implicit-def: $vgpr16
                                        ; implicit-def: $vgpr10
                                        ; implicit-def: $vgpr12
                                        ; implicit-def: $vgpr14
                                        ; implicit-def: $vgpr20
	s_waitcnt lgkmcnt(0)
	v_mul_lo_u32 v1, s6, v9
	v_mul_lo_u32 v4, s7, v8
	v_mad_u64_u32 v[6:7], s[0:1], s6, v8, v[2:3]
	v_add3_u32 v7, v4, v7, v1
	v_mul_hi_u32 v1, v0, s2
	v_mul_u32_u24_e32 v1, 0x79, v1
	v_mov_b64_e32 v[4:5], 0
	v_cmp_gt_u64_e64 s[0:1], s[10:11], v[8:9]
	v_sub_u32_e32 v2, v0, v1
	v_lshl_add_u64 v[0:1], v[6:7], 3, s[8:9]
	v_mov_b64_e32 v[6:7], v[4:5]
                                        ; implicit-def: $vgpr8
	s_and_saveexec_b64 s[2:3], s[0:1]
	s_cbranch_execz .LBB0_11
; %bb.10:
	v_mov_b32_e32 v3, 0
	v_lshl_add_u64 v[4:5], v[2:3], 3, v[0:1]
	v_add_co_u32_e32 v24, vcc, 0x1000, v4
	global_load_dwordx2 v[6:7], v[4:5], off
	global_load_dwordx2 v[30:31], v[4:5], off offset:968
	global_load_dwordx2 v[26:27], v[4:5], off offset:1936
	;; [unrolled: 1-line block ×3, first 2 shown]
	v_addc_co_u32_e32 v25, vcc, 0, v5, vcc
	global_load_dwordx2 v[18:19], v[4:5], off offset:3872
	global_load_dwordx2 v[16:17], v[24:25], off offset:744
	;; [unrolled: 1-line block ×4, first 2 shown]
	v_add_co_u32_e32 v4, vcc, 0x2000, v4
	s_nop 1
	v_addc_co_u32_e32 v5, vcc, 0, v5, vcc
	global_load_dwordx2 v[12:13], v[24:25], off offset:3648
	global_load_dwordx2 v[10:11], v[4:5], off offset:520
	global_load_dwordx2 v[8:9], v[4:5], off offset:1488
	v_mov_b64_e32 v[4:5], v[2:3]
	s_waitcnt vmcnt(9)
	v_mov_b32_e32 v25, v31
	s_waitcnt vmcnt(7)
	v_mov_b32_e32 v24, v23
	v_mov_b32_e32 v23, v30
.LBB0_11:
	s_or_b64 exec, exec, s[2:3]
	v_and_b32_e32 v3, 1, v28
	v_mov_b32_e32 v28, 0x14cc
	v_cmp_eq_u32_e32 vcc, 1, v3
	s_mov_b32 s8, 0xbf4178ce
	s_mov_b32 s10, 0xbe903f40
	v_cndmask_b32_e32 v3, 0, v28, vcc
	v_add_f32_e32 v28, v23, v6
	v_add_f32_e32 v46, v26, v28
	s_waitcnt vmcnt(0)
	v_pk_add_f32 v[44:45], v[24:25], v[8:9] neg_lo:[0,1] neg_hi:[0,1]
	s_mov_b32 s6, 0x3f7d64f0
	s_mov_b32 s2, 0xbf7d64f0
	;; [unrolled: 1-line block ×4, first 2 shown]
	v_mov_b32_e32 v47, v8
	s_mov_b32 s12, 0x3f0a6770
	s_mov_b32 s30, s8
	;; [unrolled: 1-line block ×4, first 2 shown]
	v_pk_add_f32 v[32:33], v[26:27], v[10:11] neg_lo:[0,1] neg_hi:[0,1]
	v_mov_b32_e32 v30, v22
	v_mov_b32_e32 v31, v24
	s_mov_b32 s3, 0xbe11bafb
	v_pk_add_f32 v[46:47], v[22:23], v[46:47]
	s_mov_b32 s22, s9
	s_mov_b32 s23, s11
	v_pk_mul_f32 v[48:49], v[44:45], s[30:31] op_sel:[1,0]
	s_mov_b32 s34, s6
	s_mov_b32 s35, s12
	v_pk_add_f32 v[28:29], v[26:27], v[10:11]
	s_mov_b32 s14, 0xbf68dda4
	v_pk_add_f32 v[36:37], v[30:31], v[12:13] neg_lo:[0,1] neg_hi:[0,1]
	s_mov_b32 s21, 0x3f575c64
	s_mov_b32 s17, 0x3f68dda4
	;; [unrolled: 1-line block ×3, first 2 shown]
	v_pk_mul_f32 v[50:51], v[32:33], s[34:35] op_sel:[1,0]
	s_mov_b32 s38, s7
	s_mov_b32 s39, s8
	v_pk_fma_f32 v[60:61], v[46:47], s[22:23], v[48:49] op_sel:[1,0,0] neg_lo:[0,0,1] neg_hi:[0,0,1]
	s_mov_b32 s15, 0x3ed4b147
	v_pk_add_f32 v[30:31], v[30:31], v[12:13]
	v_pk_add_f32 v[40:41], v[18:19], v[14:15] neg_lo:[0,1] neg_hi:[0,1]
	s_mov_b32 s26, s21
	s_mov_b32 s27, s9
	v_pk_mul_f32 v[52:53], v[36:37], s[38:39] op_sel:[1,0]
	s_mov_b32 s40, s10
	s_mov_b32 s41, s17
	v_pk_fma_f32 v[58:59], v[28:29], s[20:21], v[50:51] op_sel_hi:[0,1,1] neg_lo:[0,0,1] neg_hi:[0,0,1]
	v_pk_add_f32 v[60:61], v[60:61], v[6:7] op_sel_hi:[1,0]
	v_pk_add_f32 v[34:35], v[18:19], v[14:15]
	v_pk_add_f32 v[42:43], v[16:17], v[20:21] neg_lo:[0,1] neg_hi:[0,1]
	s_mov_b32 s24, s11
	s_mov_b32 s25, s15
	v_pk_mul_f32 v[54:55], v[40:41], s[40:41] op_sel:[1,0]
	s_mov_b32 s36, s17
	s_mov_b32 s37, s2
	v_pk_add_f32 v[58:59], v[58:59], v[60:61]
	v_pk_fma_f32 v[60:61], v[30:31], s[26:27], v[52:53] op_sel_hi:[0,1,1] neg_lo:[0,0,1] neg_hi:[0,0,1]
	v_pk_add_f32 v[38:39], v[16:17], v[20:21]
	s_mov_b32 s28, s15
	s_mov_b32 s29, s3
	v_pk_mul_f32 v[56:57], v[42:43], s[36:37] op_sel:[1,0]
	v_pk_add_f32 v[58:59], v[60:61], v[58:59]
	v_pk_fma_f32 v[60:61], v[34:35], s[24:25], v[54:55] op_sel_hi:[0,1,1] neg_lo:[0,0,1] neg_hi:[0,0,1]
	v_add_u32_e32 v108, 0, v3
	v_pk_add_f32 v[58:59], v[60:61], v[58:59]
	v_pk_fma_f32 v[60:61], v[38:39], s[28:29], v[56:57] op_sel_hi:[0,1,1] neg_lo:[0,0,1] neg_hi:[0,0,1]
	v_pk_add_f32 v[58:59], v[60:61], v[58:59]
	v_mad_u32_u24 v109, v2, 44, v108
	s_mov_b32 s42, s14
	s_mov_b32 s43, s2
	ds_write2_b32 v109, v59, v58 offset0:6 offset1:7
	v_pk_mul_f32 v[58:59], v[44:45], s[42:43] op_sel:[1,0]
	s_mov_b32 s19, 0x3e903f40
	s_mov_b32 s18, s8
	v_pk_fma_f32 v[60:61], v[46:47], s[28:29], v[58:59] op_sel:[1,0,0] neg_lo:[0,0,1] neg_hi:[0,0,1]
	v_pk_mul_f32 v[62:63], v[32:33], s[18:19] op_sel:[1,0]
	v_pk_add_f32 v[60:61], v[60:61], v[6:7] op_sel_hi:[1,0]
	v_pk_fma_f32 v[64:65], v[28:29], s[22:23], v[62:63] op_sel_hi:[0,1,1] neg_lo:[0,0,1] neg_hi:[0,0,1]
	s_mov_b32 s16, s19
	v_pk_add_f32 v[60:61], v[64:65], v[60:61]
	v_pk_mul_f32 v[64:65], v[36:37], s[16:17] op_sel:[1,0]
	s_mov_b32 s13, s8
	v_pk_fma_f32 v[66:67], v[30:31], s[24:25], v[64:65] op_sel_hi:[0,1,1] neg_lo:[0,0,1] neg_hi:[0,0,1]
	v_pk_add_f32 v[60:61], v[66:67], v[60:61]
	v_pk_mul_f32 v[66:67], v[40:41], s[6:7] op_sel:[1,0]
	s_mov_b32 s44, s15
	v_pk_fma_f32 v[68:69], v[34:35], s[20:21], v[66:67] op_sel_hi:[0,1,1] neg_lo:[0,0,1] neg_hi:[0,0,1]
	;; [unrolled: 4-line block ×3, first 2 shown]
	v_pk_add_f32 v[60:61], v[70:71], v[60:61]
	ds_write2_b32 v109, v61, v60 offset0:8 offset1:9
	v_mov_b32_e32 v60, v33
	v_mov_b32_e32 v61, v28
	v_pk_mul_f32 v[70:71], v[60:61], s[14:15]
	v_pk_add_f32 v[102:103], v[18:19], v[46:47]
	v_mov_b32_e32 v73, v70
	v_pk_fma_f32 v[60:61], v[60:61], s[14:15], v[72:73]
	v_mov_b32_e32 v72, v29
	v_mov_b32_e32 v73, v32
	v_pk_mul_f32 v[74:75], v[72:73], s[44:45]
	v_mul_f32_e32 v107, 0xbf0a6770, v45
	v_mov_b32_e32 v77, v74
	v_pk_fma_f32 v[72:73], v[72:73], s[44:45], v[76:77] neg_lo:[1,0,0] neg_hi:[1,0,0]
	v_mov_b32_e32 v76, v37
	v_mov_b32_e32 v77, v30
	v_pk_mul_f32 v[78:79], v[76:77], s[2:3]
	s_mov_b32 s44, s3
	v_mov_b32_e32 v81, v78
	v_pk_fma_f32 v[76:77], v[76:77], s[2:3], v[80:81]
	v_mov_b32_e32 v80, v31
	v_mov_b32_e32 v81, v36
	s_mov_b32 s45, s2
	v_pk_mul_f32 v[82:83], v[80:81], s[44:45]
	v_mov_b32_e32 v106, v16
	v_mov_b32_e32 v85, v82
	v_pk_fma_f32 v[80:81], v[80:81], s[44:45], v[84:85] neg_lo:[1,0,0] neg_hi:[1,0,0]
	v_mov_b32_e32 v84, v41
	v_mov_b32_e32 v85, v34
	v_pk_mul_f32 v[86:87], v[84:85], s[8:9]
	s_mov_b32 s44, s9
	v_mov_b32_e32 v89, v86
	v_pk_fma_f32 v[84:85], v[84:85], s[8:9], v[88:89]
	v_mov_b32_e32 v88, v35
	v_mov_b32_e32 v89, v40
	s_mov_b32 s45, s8
	v_pk_mul_f32 v[90:91], v[88:89], s[44:45]
	v_mov_b32_e32 v60, v14
	;; [unrolled: 13-line block ×3, first 2 shown]
	v_mov_b32_e32 v101, v98
	v_pk_fma_f32 v[96:97], v[96:97], s[44:45], v[100:101] neg_lo:[1,0,0] neg_hi:[1,0,0]
	v_mov_b32_e32 v101, 0x3f575c64
	v_mov_b32_e32 v100, v18
	v_pk_mul_f32 v[104:105], v[100:101], v[46:47]
	v_mov_b32_e32 v84, v10
	v_mov_b32_e32 v103, v105
	v_pk_add_f32 v[102:103], v[106:107], v[102:103]
	v_mov_b32_e32 v106, v20
	v_mov_b32_e32 v107, v6
	v_pk_add_f32 v[102:103], v[106:107], v[102:103]
	v_fmac_f32_e32 v105, 0x3f0a6770, v45
	v_pk_add_f32 v[44:45], v[60:61], v[102:103]
	v_mov_b32_e32 v92, v8
	v_pk_add_f32 v[44:45], v[76:77], v[44:45]
	v_pk_fma_f32 v[58:59], v[46:47], s[28:29], v[58:59] op_sel:[1,0,0]
	v_pk_add_f32 v[44:45], v[84:85], v[44:45]
	v_pk_add_f32 v[58:59], v[58:59], v[6:7] op_sel_hi:[1,0]
	v_pk_add_f32 v[44:45], v[92:93], v[44:45]
	ds_write2_b32 v109, v44, v45 offset1:1
	v_pk_fma_f32 v[44:45], v[28:29], s[22:23], v[62:63] op_sel_hi:[0,1,1]
	v_pk_add_f32 v[44:45], v[44:45], v[58:59]
	v_pk_fma_f32 v[58:59], v[30:31], s[24:25], v[64:65] op_sel_hi:[0,1,1]
	v_pk_add_f32 v[44:45], v[58:59], v[44:45]
	;; [unrolled: 2-line block ×4, first 2 shown]
	v_add_f32_e32 v10, v25, v7
	ds_write2_b32 v109, v44, v45 offset0:2 offset1:3
	v_pk_fma_f32 v[44:45], v[46:47], s[22:23], v[48:49] op_sel:[1,0,0]
	v_add_f32_e32 v22, v27, v10
	v_sub_f32_e32 v10, v71, v70
	v_add_f32_e32 v20, v105, v6
	v_pk_fma_f32 v[46:47], v[28:29], s[20:21], v[50:51] op_sel_hi:[0,1,1]
	v_pk_add_f32 v[44:45], v[44:45], v[6:7] op_sel_hi:[1,0]
	v_sub_f32_e32 v14, v79, v78
	v_add_f32_e32 v10, v10, v20
	v_pk_add_f32 v[44:45], v[46:47], v[44:45]
	v_pk_fma_f32 v[46:47], v[30:31], s[26:27], v[52:53] op_sel_hi:[0,1,1]
	v_sub_f32_e32 v16, v87, v86
	v_add_f32_e32 v10, v14, v10
	v_pk_add_f32 v[44:45], v[46:47], v[44:45]
	v_pk_fma_f32 v[46:47], v[34:35], s[24:25], v[54:55] op_sel_hi:[0,1,1]
	;; [unrolled: 4-line block ×3, first 2 shown]
	v_add_f32_e32 v14, v18, v10
	v_mov_b32_e32 v10, v23
	v_mov_b32_e32 v23, v9
	v_pk_add_f32 v[44:45], v[46:47], v[44:45]
	v_pk_add_f32 v[26:27], v[10:11], v[8:9] op_sel_hi:[0,1] neg_lo:[0,1] neg_hi:[0,1]
	v_pk_add_f32 v[24:25], v[24:25], v[22:23]
	v_mov_b32_e32 v100, v19
	ds_write2_b32 v109, v44, v45 offset0:4 offset1:5
	v_mul_f32_e32 v45, 0xbf0a6770, v26
	v_pk_add_f32 v[22:23], v[100:101], v[24:25]
	v_mov_b32_e32 v44, v17
	v_mov_b32_e32 v8, v17
	v_pk_add_f32 v[16:17], v[22:23], v[8:9] op_sel_hi:[1,0]
	v_pk_fma_f32 v[22:23], v[100:101], v[24:25], v[44:45] neg_lo:[0,0,1] neg_hi:[0,0,1]
	v_mov_b32_e32 v72, v15
	v_mov_b32_e32 v17, v23
	v_mov_b32_e32 v22, v21
	v_mov_b32_e32 v23, v7
	v_pk_add_f32 v[16:17], v[22:23], v[16:17]
	ds_write_b32 v109, v14 offset:40
	v_pk_add_f32 v[14:15], v[72:73], v[16:17]
	v_pk_mul_f32 v[16:17], v[100:101], v[24:25]
	v_add_f32_e32 v12, v74, v75
	v_fmac_f32_e32 v17, 0xbf0a6770, v26
	v_add_f32_e32 v8, v17, v7
	v_mov_b32_e32 v80, v13
	v_add_f32_e32 v54, v82, v83
	s_movk_i32 s33, 0xffd8
	v_add_f32_e32 v8, v12, v8
	v_pk_add_f32 v[12:13], v[80:81], v[14:15]
	v_mov_b32_e32 v88, v11
	v_add_f32_e32 v55, v90, v91
	v_mad_i32_i24 v20, v2, s33, v109
	v_add_f32_e32 v8, v54, v8
	v_pk_add_f32 v[10:11], v[88:89], v[12:13]
	v_mov_b32_e32 v96, v9
	v_lshl_add_u32 v18, v2, 2, v108
	v_add_u32_e32 v19, 0x400, v20
	v_add_u32_e32 v21, 0x800, v20
	;; [unrolled: 1-line block ×4, first 2 shown]
	v_add_f32_e32 v12, v55, v8
	v_pk_add_f32 v[8:9], v[96:97], v[10:11]
	s_waitcnt lgkmcnt(0)
	s_barrier
	ds_read_b32 v60, v18
	ds_read2_b32 v[46:47], v20 offset0:121 offset1:242
	ds_read2_b32 v[44:45], v19 offset0:107 offset1:228
	;; [unrolled: 1-line block ×5, first 2 shown]
	s_waitcnt lgkmcnt(0)
	s_barrier
	ds_write2_b32 v109, v8, v9 offset1:1
	v_pk_mul_f32 v[8:9], v[26:27], s[42:43] op_sel_hi:[0,1]
	v_add_f32_e32 v56, v98, v99
	v_pk_mul_f32 v[10:11], v[32:33], s[18:19] op_sel_hi:[0,1]
	v_pk_fma_f32 v[58:59], v[24:25], s[28:29], v[8:9] op_sel:[1,0,0] neg_lo:[0,0,1] neg_hi:[0,0,1]
	v_add_f32_e32 v61, v56, v12
	v_pk_fma_f32 v[12:13], v[28:29], s[22:23], v[10:11] op_sel:[1,0,0] neg_lo:[0,0,1] neg_hi:[0,0,1]
	v_pk_mul_f32 v[14:15], v[36:37], s[16:17] op_sel_hi:[0,1]
	v_pk_add_f32 v[58:59], v[58:59], v[6:7] op_sel:[0,1]
	v_pk_fma_f32 v[16:17], v[30:31], s[24:25], v[14:15] op_sel:[1,0,0] neg_lo:[0,0,1] neg_hi:[0,0,1]
	v_pk_mul_f32 v[54:55], v[40:41], s[6:7] op_sel_hi:[0,1]
	v_pk_add_f32 v[12:13], v[12:13], v[58:59]
	v_pk_fma_f32 v[56:57], v[34:35], s[20:21], v[54:55] op_sel:[1,0,0] neg_lo:[0,0,1] neg_hi:[0,0,1]
	v_pk_mul_f32 v[58:59], v[42:43], s[12:13] op_sel_hi:[0,1]
	v_pk_add_f32 v[12:13], v[16:17], v[12:13]
	v_pk_fma_f32 v[16:17], v[38:39], s[26:27], v[58:59] op_sel:[1,0,0] neg_lo:[0,0,1] neg_hi:[0,0,1]
	v_pk_add_f32 v[12:13], v[56:57], v[12:13]
	v_pk_mul_f32 v[40:41], v[40:41], s[40:41] op_sel_hi:[0,1]
	v_pk_add_f32 v[12:13], v[16:17], v[12:13]
	ds_write2_b32 v109, v12, v13 offset0:2 offset1:3
	v_pk_mul_f32 v[12:13], v[26:27], s[30:31] op_sel_hi:[0,1]
	v_pk_mul_f32 v[16:17], v[32:33], s[34:35] op_sel_hi:[0,1]
	v_pk_fma_f32 v[56:57], v[24:25], s[22:23], v[12:13] op_sel:[1,0,0] neg_lo:[0,0,1] neg_hi:[0,0,1]
	v_pk_fma_f32 v[26:27], v[28:29], s[20:21], v[16:17] op_sel:[1,0,0] neg_lo:[0,0,1] neg_hi:[0,0,1]
	v_pk_mul_f32 v[32:33], v[36:37], s[38:39] op_sel_hi:[0,1]
	v_pk_add_f32 v[56:57], v[56:57], v[6:7] op_sel:[0,1]
	v_pk_fma_f32 v[36:37], v[30:31], s[26:27], v[32:33] op_sel:[1,0,0] neg_lo:[0,0,1] neg_hi:[0,0,1]
	v_pk_add_f32 v[26:27], v[26:27], v[56:57]
	v_pk_fma_f32 v[56:57], v[34:35], s[24:25], v[40:41] op_sel:[1,0,0] neg_lo:[0,0,1] neg_hi:[0,0,1]
	v_pk_mul_f32 v[42:43], v[42:43], s[36:37] op_sel_hi:[0,1]
	v_pk_add_f32 v[26:27], v[36:37], v[26:27]
	v_pk_fma_f32 v[36:37], v[38:39], s[28:29], v[42:43] op_sel:[1,0,0] neg_lo:[0,0,1] neg_hi:[0,0,1]
	v_pk_add_f32 v[26:27], v[56:57], v[26:27]
	v_pk_fma_f32 v[12:13], v[24:25], s[22:23], v[12:13] op_sel:[1,0,0]
	v_pk_add_f32 v[26:27], v[36:37], v[26:27]
	v_pk_fma_f32 v[16:17], v[28:29], s[20:21], v[16:17] op_sel:[1,0,0]
	v_pk_add_f32 v[12:13], v[12:13], v[6:7] op_sel:[0,1]
	ds_write2_b32 v109, v26, v27 offset0:4 offset1:5
	v_pk_fma_f32 v[26:27], v[30:31], s[26:27], v[32:33] op_sel:[1,0,0]
	v_pk_add_f32 v[12:13], v[16:17], v[12:13]
	v_pk_fma_f32 v[32:33], v[34:35], s[24:25], v[40:41] op_sel:[1,0,0]
	v_pk_add_f32 v[12:13], v[26:27], v[12:13]
	;; [unrolled: 2-line block ×4, first 2 shown]
	v_pk_fma_f32 v[10:11], v[28:29], s[22:23], v[10:11] op_sel:[1,0,0]
	v_pk_add_f32 v[6:7], v[8:9], v[6:7] op_sel:[0,1]
	ds_write2_b32 v109, v13, v12 offset0:6 offset1:7
	v_pk_fma_f32 v[12:13], v[30:31], s[24:25], v[14:15] op_sel:[1,0,0]
	v_pk_add_f32 v[6:7], v[10:11], v[6:7]
	v_pk_fma_f32 v[14:15], v[34:35], s[20:21], v[54:55] op_sel:[1,0,0]
	v_pk_add_f32 v[6:7], v[12:13], v[6:7]
	;; [unrolled: 2-line block ×3, first 2 shown]
	s_movk_i32 s13, 0x75
	v_pk_add_f32 v[6:7], v[16:17], v[6:7]
	ds_write2_b32 v109, v7, v6 offset0:8 offset1:9
	ds_write_b32 v109, v61 offset:40
	v_mul_lo_u16_sdwa v6, v2, s13 dst_sel:DWORD dst_unused:UNUSED_PAD src0_sel:BYTE_0 src1_sel:DWORD
	v_sub_u16_sdwa v7, v2, v6 dst_sel:DWORD dst_unused:UNUSED_PAD src0_sel:DWORD src1_sel:BYTE_1
	v_lshrrev_b16_e32 v7, 1, v7
	v_and_b32_e32 v7, 0x7f, v7
	v_add_u16_sdwa v6, v7, v6 dst_sel:DWORD dst_unused:UNUSED_PAD src0_sel:DWORD src1_sel:BYTE_1
	v_lshrrev_b16_e32 v42, 3, v6
	v_mul_lo_u16_e32 v6, 11, v42
	v_sub_u16_e32 v43, v2, v6
	v_mov_b32_e32 v6, 10
	v_mul_u32_u24_sdwa v6, v43, v6 dst_sel:DWORD dst_unused:UNUSED_PAD src0_sel:BYTE_0 src1_sel:DWORD
	v_lshlrev_b32_e32 v32, 3, v6
	s_waitcnt lgkmcnt(0)
	s_barrier
	global_load_dwordx4 v[6:9], v32, s[4:5]
	global_load_dwordx4 v[10:13], v32, s[4:5] offset:16
	global_load_dwordx4 v[14:17], v32, s[4:5] offset:32
	global_load_dwordx4 v[24:27], v32, s[4:5] offset:48
	global_load_dwordx4 v[28:31], v32, s[4:5] offset:64
	ds_read_b32 v54, v18
	ds_read2_b32 v[32:33], v20 offset0:121 offset1:242
	ds_read2_b32 v[34:35], v19 offset0:107 offset1:228
	;; [unrolled: 1-line block ×5, first 2 shown]
	s_movk_i32 s16, 0x1e4
	s_waitcnt lgkmcnt(0)
	s_barrier
	s_movk_i32 s13, 0x1000
	s_waitcnt vmcnt(4)
	v_mul_f32_e32 v55, v32, v7
	v_mul_f32_e32 v7, v46, v7
	v_fmac_f32_e32 v55, v46, v6
	v_fma_f32 v6, v32, v6, -v7
	v_mul_f32_e32 v7, v33, v9
	v_mul_f32_e32 v9, v47, v9
	v_fmac_f32_e32 v7, v47, v8
	v_fma_f32 v8, v33, v8, -v9
	s_waitcnt vmcnt(3)
	v_mul_f32_e32 v9, v34, v11
	v_mul_f32_e32 v11, v44, v11
	v_fmac_f32_e32 v9, v44, v10
	v_fma_f32 v10, v34, v10, -v11
	v_mul_f32_e32 v11, v35, v13
	v_mul_f32_e32 v13, v45, v13
	v_fmac_f32_e32 v11, v45, v12
	v_fma_f32 v12, v35, v12, -v13
	;; [unrolled: 9-line block ×5, first 2 shown]
	v_add_f32_e32 v31, v60, v55
	v_add_f32_e32 v31, v31, v7
	;; [unrolled: 1-line block ×20, first 2 shown]
	v_sub_f32_e32 v29, v55, v29
	v_mul_f32_e32 v36, 0x3f575c64, v34
	v_mul_f32_e32 v40, 0x3ed4b147, v34
	;; [unrolled: 1-line block ×5, first 2 shown]
	v_add_f32_e32 v32, v32, v28
	v_sub_f32_e32 v6, v6, v30
	v_fmamk_f32 v53, v29, 0x3e903f40, v34
	v_fmac_f32_e32 v34, 0xbe903f40, v29
	v_add_f32_e32 v32, v32, v30
	v_mul_f32_e32 v30, 0xbf0a6770, v6
	v_fmamk_f32 v37, v29, 0x3f0a6770, v36
	v_fmac_f32_e32 v36, 0xbf0a6770, v29
	v_mul_f32_e32 v38, 0xbf68dda4, v6
	v_fmamk_f32 v41, v29, 0x3f68dda4, v40
	v_fmac_f32_e32 v40, 0xbf68dda4, v29
	v_mul_f32_e32 v44, 0xbf7d64f0, v6
	v_fmamk_f32 v47, v29, 0x3f7d64f0, v46
	v_fmac_f32_e32 v46, 0xbf7d64f0, v29
	v_mul_f32_e32 v48, 0xbf4178ce, v6
	v_fmamk_f32 v51, v29, 0x3f4178ce, v50
	v_fmac_f32_e32 v50, 0xbf4178ce, v29
	v_mul_f32_e32 v6, 0xbe903f40, v6
	v_add_f32_e32 v29, v54, v34
	v_add_f32_e32 v34, v8, v28
	v_sub_f32_e32 v8, v8, v28
	v_fmamk_f32 v35, v33, 0x3f575c64, v30
	v_fma_f32 v30, v33, s21, -v30
	v_fmamk_f32 v39, v33, 0x3ed4b147, v38
	v_fma_f32 v38, v33, s15, -v38
	;; [unrolled: 2-line block ×5, first 2 shown]
	v_add_f32_e32 v33, v7, v27
	v_sub_f32_e32 v7, v7, v27
	v_mul_f32_e32 v27, 0xbf68dda4, v8
	v_add_f32_e32 v35, v60, v35
	v_fmamk_f32 v28, v33, 0x3ed4b147, v27
	v_add_f32_e32 v28, v28, v35
	v_mul_f32_e32 v35, 0x3ed4b147, v34
	v_add_f32_e32 v37, v54, v37
	v_add_f32_e32 v30, v60, v30
	;; [unrolled: 1-line block ×10, first 2 shown]
	v_fmamk_f32 v54, v7, 0x3f68dda4, v35
	v_fma_f32 v27, v33, s15, -v27
	v_fmac_f32_e32 v35, 0xbf68dda4, v7
	v_add_f32_e32 v27, v27, v30
	v_add_f32_e32 v30, v35, v36
	v_mul_f32_e32 v35, 0xbf4178ce, v8
	v_add_f32_e32 v39, v60, v39
	v_fmamk_f32 v36, v33, 0xbf27a4f4, v35
	v_add_f32_e32 v36, v36, v39
	v_mul_f32_e32 v39, 0xbf27a4f4, v34
	v_add_f32_e32 v38, v60, v38
	v_add_f32_e32 v37, v54, v37
	v_fmamk_f32 v54, v7, 0x3f4178ce, v39
	v_fma_f32 v35, v33, s9, -v35
	v_fmac_f32_e32 v39, 0xbf4178ce, v7
	v_add_f32_e32 v35, v35, v38
	v_add_f32_e32 v38, v39, v40
	v_mul_f32_e32 v39, 0x3e903f40, v8
	v_add_f32_e32 v45, v60, v45
	v_fmamk_f32 v40, v33, 0xbf75a155, v39
	v_add_f32_e32 v40, v40, v45
	v_mul_f32_e32 v45, 0xbf75a155, v34
	v_add_f32_e32 v44, v60, v44
	v_add_f32_e32 v41, v54, v41
	;; [unrolled: 12-line block ×3, first 2 shown]
	v_fmamk_f32 v54, v7, 0xbf7d64f0, v49
	v_fma_f32 v45, v33, s3, -v45
	v_fmac_f32_e32 v49, 0x3f7d64f0, v7
	v_mul_f32_e32 v34, 0x3f575c64, v34
	v_add_f32_e32 v45, v45, v48
	v_add_f32_e32 v48, v49, v50
	v_mul_f32_e32 v8, 0x3f0a6770, v8
	v_fmamk_f32 v50, v7, 0xbf0a6770, v34
	v_fmac_f32_e32 v34, 0x3f0a6770, v7
	v_add_f32_e32 v6, v60, v6
	v_fmamk_f32 v49, v33, 0x3f575c64, v8
	v_fma_f32 v8, v33, s21, -v8
	v_add_f32_e32 v7, v34, v29
	v_add_f32_e32 v29, v10, v26
	v_sub_f32_e32 v10, v10, v26
	v_add_f32_e32 v6, v8, v6
	v_add_f32_e32 v8, v9, v25
	v_sub_f32_e32 v9, v9, v25
	v_mul_f32_e32 v25, 0xbf7d64f0, v10
	v_fmamk_f32 v26, v8, 0xbe11bafb, v25
	v_add_f32_e32 v26, v26, v28
	v_mul_f32_e32 v28, 0xbe11bafb, v29
	v_fmamk_f32 v33, v9, 0x3f7d64f0, v28
	v_fma_f32 v25, v8, s3, -v25
	v_fmac_f32_e32 v28, 0xbf7d64f0, v9
	v_add_f32_e32 v25, v25, v27
	v_add_f32_e32 v27, v28, v30
	v_mul_f32_e32 v28, 0x3e903f40, v10
	v_fmamk_f32 v30, v8, 0xbf75a155, v28
	v_fma_f32 v28, v8, s11, -v28
	v_add_f32_e32 v28, v28, v35
	v_mul_f32_e32 v35, 0x3f68dda4, v10
	v_add_f32_e32 v33, v33, v37
	v_mul_f32_e32 v34, 0xbf75a155, v29
	v_fmamk_f32 v37, v8, 0x3ed4b147, v35
	v_fma_f32 v35, v8, s15, -v35
	v_add_f32_e32 v30, v30, v36
	v_fmamk_f32 v36, v9, 0xbe903f40, v34
	v_fmac_f32_e32 v34, 0x3e903f40, v9
	v_add_f32_e32 v35, v35, v39
	v_mul_f32_e32 v39, 0xbf0a6770, v10
	v_add_f32_e32 v36, v36, v41
	v_add_f32_e32 v34, v34, v38
	v_mul_f32_e32 v38, 0x3ed4b147, v29
	v_fmamk_f32 v41, v8, 0x3f575c64, v39
	v_fma_f32 v39, v8, s21, -v39
	v_mul_f32_e32 v10, 0xbf4178ce, v10
	v_add_f32_e32 v37, v37, v40
	v_fmamk_f32 v40, v9, 0xbf68dda4, v38
	v_fmac_f32_e32 v38, 0x3f68dda4, v9
	v_add_f32_e32 v39, v39, v45
	v_fmamk_f32 v45, v8, 0xbf27a4f4, v10
	v_fma_f32 v8, v8, s9, -v10
	v_add_f32_e32 v38, v38, v44
	v_mul_f32_e32 v44, 0x3f575c64, v29
	v_mul_f32_e32 v29, 0xbf27a4f4, v29
	v_add_f32_e32 v6, v8, v6
	v_add_f32_e32 v8, v11, v17
	v_sub_f32_e32 v10, v11, v17
	v_sub_f32_e32 v11, v12, v24
	v_add_f32_e32 v40, v40, v47
	v_add_f32_e32 v41, v41, v46
	v_fmamk_f32 v46, v9, 0x3f0a6770, v44
	v_fmac_f32_e32 v44, 0xbf0a6770, v9
	v_fmamk_f32 v47, v9, 0x3f4178ce, v29
	v_fmac_f32_e32 v29, 0xbf4178ce, v9
	v_add_f32_e32 v9, v12, v24
	v_mul_f32_e32 v12, 0xbf4178ce, v11
	v_fmamk_f32 v17, v8, 0xbf27a4f4, v12
	v_mul_f32_e32 v24, 0xbf27a4f4, v9
	v_fma_f32 v12, v8, s9, -v12
	v_add_f32_e32 v17, v17, v26
	v_fmamk_f32 v26, v10, 0x3f4178ce, v24
	v_add_f32_e32 v12, v12, v25
	v_fmac_f32_e32 v24, 0xbf4178ce, v10
	v_mul_f32_e32 v25, 0x3f7d64f0, v11
	v_add_f32_e32 v7, v29, v7
	v_add_f32_e32 v24, v24, v27
	v_fmamk_f32 v27, v8, 0xbe11bafb, v25
	v_mul_f32_e32 v29, 0xbe11bafb, v9
	v_add_f32_e32 v27, v27, v30
	v_fmamk_f32 v30, v10, 0xbf7d64f0, v29
	v_fma_f32 v25, v8, s3, -v25
	v_fmac_f32_e32 v29, 0x3f7d64f0, v10
	v_add_f32_e32 v25, v25, v28
	v_add_f32_e32 v28, v29, v34
	v_mul_f32_e32 v29, 0xbf0a6770, v11
	v_add_f32_e32 v26, v26, v33
	v_fmamk_f32 v33, v8, 0x3f575c64, v29
	v_mul_f32_e32 v34, 0x3f575c64, v9
	v_fma_f32 v29, v8, s21, -v29
	v_add_f32_e32 v30, v30, v36
	v_fmamk_f32 v36, v10, 0x3f0a6770, v34
	v_add_f32_e32 v29, v29, v35
	v_fmac_f32_e32 v34, 0xbf0a6770, v10
	v_mul_f32_e32 v35, 0xbe903f40, v11
	v_add_f32_e32 v33, v33, v37
	v_add_f32_e32 v34, v34, v38
	v_fmamk_f32 v37, v8, 0xbf75a155, v35
	v_mul_f32_e32 v38, 0xbf75a155, v9
	v_mul_f32_e32 v9, 0x3ed4b147, v9
	v_add_f32_e32 v37, v37, v41
	v_fma_f32 v35, v8, s11, -v35
	v_mul_f32_e32 v11, 0x3f68dda4, v11
	v_fmamk_f32 v41, v10, 0xbf68dda4, v9
	v_fmac_f32_e32 v9, 0x3f68dda4, v10
	v_add_f32_e32 v35, v35, v39
	v_fmamk_f32 v39, v8, 0x3ed4b147, v11
	v_fma_f32 v8, v8, s15, -v11
	v_add_f32_e32 v7, v9, v7
	v_add_f32_e32 v9, v14, v16
	v_sub_f32_e32 v11, v14, v16
	v_add_f32_e32 v36, v36, v40
	v_fmamk_f32 v40, v10, 0x3e903f40, v38
	v_fmac_f32_e32 v38, 0xbe903f40, v10
	v_add_f32_e32 v6, v8, v6
	v_add_f32_e32 v8, v13, v15
	v_sub_f32_e32 v10, v13, v15
	v_mul_f32_e32 v13, 0xbe903f40, v11
	v_mul_f32_e32 v15, 0xbf75a155, v9
	v_fmamk_f32 v14, v8, 0xbf75a155, v13
	v_fmamk_f32 v16, v10, 0x3e903f40, v15
	v_fma_f32 v13, v8, s11, -v13
	v_add_f32_e32 v26, v16, v26
	v_add_f32_e32 v12, v13, v12
	v_fmac_f32_e32 v15, 0xbe903f40, v10
	v_mul_f32_e32 v13, 0x3f0a6770, v11
	v_mul_f32_e32 v16, 0x3f575c64, v9
	v_add_f32_e32 v14, v14, v17
	v_add_f32_e32 v24, v15, v24
	v_fmamk_f32 v15, v8, 0x3f575c64, v13
	v_fmamk_f32 v17, v10, 0xbf0a6770, v16
	v_fma_f32 v13, v8, s21, -v13
	v_fmac_f32_e32 v16, 0x3f0a6770, v10
	v_add_f32_e32 v13, v13, v25
	v_add_f32_e32 v25, v16, v28
	v_mul_f32_e32 v16, 0xbf4178ce, v11
	v_add_f32_e32 v15, v15, v27
	v_add_f32_e32 v27, v17, v30
	v_fmamk_f32 v17, v8, 0xbf27a4f4, v16
	v_mul_f32_e32 v28, 0xbf27a4f4, v9
	v_fma_f32 v16, v8, s9, -v16
	v_fmamk_f32 v30, v10, 0x3f4178ce, v28
	v_add_f32_e32 v16, v16, v29
	v_fmac_f32_e32 v28, 0xbf4178ce, v10
	v_mul_f32_e32 v29, 0x3f68dda4, v11
	v_add_f32_e32 v17, v17, v33
	v_add_f32_e32 v28, v28, v34
	v_fmamk_f32 v33, v8, 0x3ed4b147, v29
	v_mul_f32_e32 v34, 0x3ed4b147, v9
	v_mul_f32_e32 v9, 0xbe11bafb, v9
	v_add_f32_e32 v52, v60, v52
	v_add_f32_e32 v33, v33, v37
	v_fma_f32 v29, v8, s15, -v29
	v_mul_f32_e32 v11, 0xbf7d64f0, v11
	v_fmamk_f32 v37, v10, 0x3f7d64f0, v9
	v_fmac_f32_e32 v9, 0xbf7d64f0, v10
	v_add_f32_e32 v49, v49, v52
	v_add_f32_e32 v29, v29, v35
	v_fmamk_f32 v35, v8, 0xbe11bafb, v11
	v_fma_f32 v8, v8, s3, -v11
	v_add_f32_e32 v7, v9, v7
	v_mov_b32_e32 v9, 2
	v_add_f32_e32 v45, v45, v49
	v_add_f32_e32 v6, v8, v6
	v_mad_u32_u24 v8, v42, s16, 0
	v_lshlrev_b32_sdwa v9, v9, v43 dst_sel:DWORD dst_unused:UNUSED_PAD src0_sel:DWORD src1_sel:BYTE_0
	v_add_f32_e32 v39, v39, v45
	v_add3_u32 v3, v8, v9, v3
	v_add_f32_e32 v30, v30, v36
	v_fmamk_f32 v36, v10, 0xbf68dda4, v34
	v_fmac_f32_e32 v34, 0x3f68dda4, v10
	v_add_f32_e32 v35, v35, v39
	ds_write2_b32 v3, v31, v14 offset1:11
	ds_write2_b32 v3, v15, v17 offset0:22 offset1:33
	ds_write2_b32 v3, v33, v35 offset0:44 offset1:55
	;; [unrolled: 1-line block ×4, first 2 shown]
	ds_write_b32 v3, v12 offset:440
	s_waitcnt lgkmcnt(0)
	s_barrier
	ds_read_b32 v6, v18
	ds_read2_b32 v[8:9], v20 offset0:121 offset1:242
	ds_read2_b32 v[12:13], v19 offset0:107 offset1:228
	;; [unrolled: 1-line block ×5, first 2 shown]
	v_add_f32_e32 v51, v54, v51
	v_add_f32_e32 v50, v50, v53
	;; [unrolled: 1-line block ×11, first 2 shown]
	s_waitcnt lgkmcnt(0)
	s_barrier
	ds_write2_b32 v3, v32, v26 offset1:11
	ds_write2_b32 v3, v27, v30 offset0:22 offset1:33
	ds_write2_b32 v3, v36, v37 offset0:44 offset1:55
	;; [unrolled: 1-line block ×4, first 2 shown]
	ds_write_b32 v3, v24 offset:440
	s_waitcnt lgkmcnt(0)
	s_barrier
	s_and_saveexec_b64 s[22:23], s[0:1]
	s_cbranch_execz .LBB0_13
; %bb.12:
	v_mul_u32_u24_e32 v2, 10, v2
	v_lshlrev_b32_e32 v2, 3, v2
	global_load_dwordx4 v[24:27], v2, s[4:5] offset:944
	global_load_dwordx4 v[28:31], v2, s[4:5] offset:880
	;; [unrolled: 1-line block ×5, first 2 shown]
	ds_read2_b32 v[2:3], v23 offset0:65 offset1:186
	ds_read2_b32 v[44:45], v20 offset0:121 offset1:242
	ds_read_b32 v7, v18
	ds_read2_b32 v[22:23], v22 offset0:79 offset1:200
	ds_read2_b32 v[18:19], v19 offset0:107 offset1:228
	;; [unrolled: 1-line block ×3, first 2 shown]
	v_mov_b32_e32 v48, v9
	s_waitcnt lgkmcnt(5)
	v_mov_b32_e32 v62, v3
	s_waitcnt lgkmcnt(2)
	v_mov_b32_e32 v68, v23
	v_lshl_add_u64 v[0:1], v[4:5], 3, v[0:1]
	v_mov_b32_e32 v4, v17
	v_mov_b32_e32 v46, v17
	;; [unrolled: 1-line block ×6, first 2 shown]
	s_waitcnt lgkmcnt(1)
	v_mov_b32_e32 v70, v19
	s_waitcnt lgkmcnt(0)
	v_mov_b32_e32 v72, v21
	v_mov_b32_e32 v54, v13
	v_mov_b32_e32 v56, v13
	v_mov_b32_e32 v58, v11
	v_mov_b32_e32 v60, v11
	s_mov_b32 s16, s7
	s_mov_b32 s4, s21
	;; [unrolled: 1-line block ×6, first 2 shown]
	s_waitcnt vmcnt(4)
	v_pk_mul_f32 v[62:63], v[62:63], v[26:27] op_sel_hi:[0,1]
	s_waitcnt vmcnt(3)
	v_mov_b32_e32 v74, v31
	v_mov_b32_e32 v75, v30
	v_pk_mul_f32 v[30:31], v[48:49], v[30:31] op_sel_hi:[0,1]
	v_pk_mul_f32 v[2:3], v[2:3], v[24:25] op_sel_hi:[0,1]
	s_waitcnt vmcnt(2)
	v_pk_mul_f32 v[18:19], v[18:19], v[32:33] op_sel_hi:[0,1]
	s_waitcnt vmcnt(1)
	v_pk_mul_f32 v[48:49], v[68:69], v[38:39] op_sel_hi:[0,1]
	v_pk_mul_f32 v[22:23], v[22:23], v[36:37] op_sel_hi:[0,1]
	s_waitcnt vmcnt(0)
	v_pk_mul_f32 v[20:21], v[20:21], v[40:41] op_sel_hi:[0,1]
	v_pk_mul_f32 v[44:45], v[44:45], v[28:29] op_sel_hi:[0,1]
	v_pk_fma_f32 v[4:5], v[4:5], v[26:27], v[62:63] op_sel:[0,0,1] op_sel_hi:[1,1,0]
	v_pk_fma_f32 v[26:27], v[46:47], v[26:27], v[62:63] op_sel:[0,0,1] op_sel_hi:[0,1,0] neg_lo:[1,0,0] neg_hi:[1,0,0]
	v_pk_fma_f32 v[62:63], v[16:17], v[24:25], v[2:3] op_sel:[0,0,1] op_sel_hi:[1,1,0]
	v_pk_fma_f32 v[2:3], v[16:17], v[24:25], v[2:3] op_sel:[0,0,1] op_sel_hi:[0,1,0] neg_lo:[1,0,0] neg_hi:[1,0,0]
	;; [unrolled: 2-line block ×7, first 2 shown]
	v_pk_mul_f32 v[68:69], v[70:71], v[34:35] op_sel_hi:[0,1]
	v_pk_mul_f32 v[70:71], v[72:73], v[42:43] op_sel_hi:[0,1]
	v_pk_fma_f32 v[46:47], v[64:65], v[74:75], v[30:31]
	v_pk_fma_f32 v[30:31], v[66:67], v[74:75], v[30:31] op_sel_hi:[0,1,1] neg_lo:[0,0,1] neg_hi:[0,0,1]
	v_mov_b32_e32 v5, v27
	v_mov_b32_e32 v41, v9
	v_pk_fma_f32 v[20:21], v[58:59], v[42:43], v[70:71] op_sel:[0,0,1] op_sel_hi:[1,1,0]
	v_pk_fma_f32 v[36:37], v[60:61], v[42:43], v[70:71] op_sel:[0,0,1] op_sel_hi:[0,1,0] neg_lo:[1,0,0] neg_hi:[1,0,0]
	v_mov_b32_e32 v47, v31
	v_mov_b32_e32 v63, v3
	v_pk_add_f32 v[8:9], v[40:41], v[4:5] neg_lo:[0,1] neg_hi:[0,1]
	v_mov_b32_e32 v17, v13
	v_mov_b32_e32 v21, v37
	v_pk_add_f32 v[2:3], v[4:5], v[40:41]
	v_pk_add_f32 v[12:13], v[46:47], v[62:63] neg_lo:[0,1] neg_hi:[0,1]
	v_pk_mul_f32 v[36:37], v[8:9], s[16:17] op_sel_hi:[1,0]
	v_mov_b32_e32 v23, v11
	v_pk_add_f32 v[10:11], v[62:63], v[46:47]
	v_pk_fma_f32 v[42:43], v[2:3], s[4:5], v[36:37] op_sel:[0,0,1] op_sel_hi:[1,0,0]
	v_pk_fma_f32 v[36:37], v[2:3], s[4:5], v[36:37] op_sel:[0,0,1] op_sel_hi:[1,0,0] neg_lo:[0,0,1] neg_hi:[0,0,1]
	v_pk_mul_f32 v[48:49], v[12:13], s[14:15] op_sel_hi:[1,0]
	v_mov_b32_e32 v19, v25
	v_mov_b32_e32 v44, v42
	;; [unrolled: 1-line block ×3, first 2 shown]
	v_pk_fma_f32 v[50:51], v[10:11], s[0:1], v[48:49] op_sel:[0,0,1] op_sel_hi:[1,0,0]
	v_pk_fma_f32 v[48:49], v[10:11], s[0:1], v[48:49] op_sel:[0,0,1] op_sel_hi:[1,0,0] neg_lo:[0,0,1] neg_hi:[0,0,1]
	v_pk_add_f32 v[24:25], v[16:17], v[18:19] neg_lo:[0,1] neg_hi:[0,1]
	v_pk_add_f32 v[44:45], v[6:7], v[44:45]
	v_mov_b32_e32 v52, v50
	v_mov_b32_e32 v53, v49
	v_pk_add_f32 v[40:41], v[6:7], v[40:41]
	v_pk_fma_f32 v[32:33], v[54:55], v[34:35], v[68:69] op_sel:[0,0,1] op_sel_hi:[1,1,0]
	v_pk_fma_f32 v[34:35], v[56:57], v[34:35], v[68:69] op_sel:[0,0,1] op_sel_hi:[0,1,0] neg_lo:[1,0,0] neg_hi:[1,0,0]
	v_mov_b32_e32 v39, v15
	v_pk_add_f32 v[14:15], v[18:19], v[16:17]
	v_pk_add_f32 v[44:45], v[44:45], v[52:53]
	v_pk_mul_f32 v[52:53], v[24:25], s[2:3] op_sel_hi:[1,0]
	v_pk_add_f32 v[40:41], v[40:41], v[46:47]
	v_mov_b32_e32 v33, v35
	v_pk_fma_f32 v[54:55], v[14:15], s[18:19], v[52:53] op_sel:[0,0,1] op_sel_hi:[1,0,0]
	v_pk_fma_f32 v[52:53], v[14:15], s[18:19], v[52:53] op_sel:[0,0,1] op_sel_hi:[1,0,0] neg_lo:[0,0,1] neg_hi:[0,0,1]
	v_pk_add_f32 v[16:17], v[40:41], v[16:17]
	v_pk_add_f32 v[28:29], v[32:33], v[38:39] neg_lo:[0,1] neg_hi:[0,1]
	v_mov_b32_e32 v56, v54
	v_mov_b32_e32 v57, v53
	v_pk_add_f32 v[16:17], v[16:17], v[32:33]
	v_pk_add_f32 v[26:27], v[38:39], v[32:33]
	;; [unrolled: 1-line block ×3, first 2 shown]
	v_pk_mul_f32 v[56:57], v[28:29], s[8:9] op_sel_hi:[1,0]
	v_pk_add_f32 v[16:17], v[16:17], v[22:23]
	v_pk_fma_f32 v[58:59], v[26:27], s[20:21], v[56:57] op_sel:[0,0,1] op_sel_hi:[1,0,0]
	v_pk_fma_f32 v[56:57], v[26:27], s[20:21], v[56:57] op_sel:[0,0,1] op_sel_hi:[1,0,0] neg_lo:[0,0,1] neg_hi:[0,0,1]
	v_pk_add_f32 v[16:17], v[20:21], v[16:17]
	v_pk_add_f32 v[34:35], v[22:23], v[20:21] neg_lo:[0,1] neg_hi:[0,1]
	v_mov_b32_e32 v60, v58
	v_mov_b32_e32 v61, v57
	v_pk_add_f32 v[16:17], v[38:39], v[16:17]
	v_pk_add_f32 v[30:31], v[20:21], v[22:23]
	v_pk_add_f32 v[44:45], v[44:45], v[60:61]
	v_pk_mul_f32 v[60:61], v[34:35], s[10:11] op_sel_hi:[1,0]
	v_pk_add_f32 v[16:17], v[18:19], v[16:17]
	v_pk_fma_f32 v[64:65], v[30:31], s[22:23], v[60:61] op_sel:[0,0,1] op_sel_hi:[1,0,0]
	v_pk_fma_f32 v[60:61], v[30:31], s[22:23], v[60:61] op_sel:[0,0,1] op_sel_hi:[1,0,0] neg_lo:[0,0,1] neg_hi:[0,0,1]
	v_pk_add_f32 v[16:17], v[62:63], v[16:17]
	v_mov_b32_e32 v66, v64
	v_mov_b32_e32 v67, v61
	v_pk_add_f32 v[4:5], v[4:5], v[16:17]
	v_pk_add_f32 v[44:45], v[44:45], v[66:67]
	global_store_dwordx2 v[0:1], v[4:5], off
	global_store_dwordx2 v[0:1], v[44:45], off offset:968
	v_pk_mul_f32 v[4:5], v[8:9], s[14:15] op_sel_hi:[1,0]
	v_pk_mul_f32 v[20:21], v[12:13], s[8:9] op_sel_hi:[1,0]
	v_pk_fma_f32 v[16:17], v[2:3], s[0:1], v[4:5] op_sel:[0,0,1] op_sel_hi:[1,0,0]
	v_pk_fma_f32 v[4:5], v[2:3], s[0:1], v[4:5] op_sel:[0,0,1] op_sel_hi:[1,0,0] neg_lo:[0,0,1] neg_hi:[0,0,1]
	v_mov_b32_e32 v18, v16
	v_mov_b32_e32 v19, v5
	v_pk_fma_f32 v[22:23], v[10:11], s[20:21], v[20:21] op_sel:[0,0,1] op_sel_hi:[1,0,0]
	v_pk_fma_f32 v[20:21], v[10:11], s[20:21], v[20:21] op_sel:[0,0,1] op_sel_hi:[1,0,0] neg_lo:[0,0,1] neg_hi:[0,0,1]
	v_pk_add_f32 v[18:19], v[6:7], v[18:19]
	v_mov_b32_e32 v32, v22
	v_mov_b32_e32 v33, v21
	s_mov_b32 s14, s19
	v_pk_add_f32 v[18:19], v[18:19], v[32:33]
	v_pk_mul_f32 v[32:33], v[24:25], s[14:15] op_sel_hi:[1,0]
	v_pk_mul_f32 v[70:71], v[12:13], s[14:15] op_sel_hi:[1,0]
	v_pk_fma_f32 v[38:39], v[14:15], s[22:23], v[32:33] op_sel:[0,0,1] op_sel_hi:[1,0,0]
	v_pk_fma_f32 v[32:33], v[14:15], s[22:23], v[32:33] op_sel:[0,0,1] op_sel_hi:[1,0,0] neg_lo:[0,0,1] neg_hi:[0,0,1]
	v_mov_b32_e32 v40, v38
	v_mov_b32_e32 v41, v33
	v_pk_add_f32 v[18:19], v[18:19], v[40:41]
	v_pk_mul_f32 v[40:41], v[28:29], s[6:7] op_sel_hi:[1,0]
	v_pk_fma_f32 v[72:73], v[10:11], s[22:23], v[70:71] op_sel:[0,0,1] op_sel_hi:[1,0,0]
	v_pk_fma_f32 v[44:45], v[26:27], s[18:19], v[40:41] op_sel:[0,0,1] op_sel_hi:[1,0,0]
	v_pk_fma_f32 v[40:41], v[26:27], s[18:19], v[40:41] op_sel:[0,0,1] op_sel_hi:[1,0,0] neg_lo:[0,0,1] neg_hi:[0,0,1]
	v_mov_b32_e32 v46, v44
	v_mov_b32_e32 v47, v41
	v_pk_add_f32 v[18:19], v[18:19], v[46:47]
	v_pk_mul_f32 v[46:47], v[34:35], s[12:13] op_sel_hi:[1,0]
	v_pk_fma_f32 v[70:71], v[10:11], s[22:23], v[70:71] op_sel:[0,0,1] op_sel_hi:[1,0,0] neg_lo:[0,0,1] neg_hi:[0,0,1]
	v_pk_fma_f32 v[62:63], v[30:31], s[4:5], v[46:47] op_sel:[0,0,1] op_sel_hi:[1,0,0]
	v_pk_fma_f32 v[46:47], v[30:31], s[4:5], v[46:47] op_sel:[0,0,1] op_sel_hi:[1,0,0] neg_lo:[0,0,1] neg_hi:[0,0,1]
	v_mov_b32_e32 v66, v62
	v_mov_b32_e32 v67, v47
	v_pk_add_f32 v[18:19], v[18:19], v[66:67]
	global_store_dwordx2 v[0:1], v[18:19], off offset:1936
	v_pk_mul_f32 v[18:19], v[8:9], s[2:3] op_sel_hi:[1,0]
	v_mov_b32_e32 v74, v72
	v_pk_fma_f32 v[66:67], v[2:3], s[18:19], v[18:19] op_sel:[0,0,1] op_sel_hi:[1,0,0]
	v_pk_fma_f32 v[18:19], v[2:3], s[18:19], v[18:19] op_sel:[0,0,1] op_sel_hi:[1,0,0] neg_lo:[0,0,1] neg_hi:[0,0,1]
	v_mov_b32_e32 v68, v66
	v_mov_b32_e32 v69, v19
	v_pk_add_f32 v[68:69], v[6:7], v[68:69]
	v_mov_b32_e32 v75, v71
	s_mov_b32 s14, s17
	v_pk_add_f32 v[68:69], v[68:69], v[74:75]
	v_pk_mul_f32 v[74:75], v[24:25], s[14:15] op_sel_hi:[1,0]
	v_pk_mul_f32 v[90:91], v[12:13], s[6:7] op_sel_hi:[1,0]
	v_pk_fma_f32 v[76:77], v[14:15], s[0:1], v[74:75] op_sel:[0,0,1] op_sel_hi:[1,0,0]
	v_pk_fma_f32 v[74:75], v[14:15], s[0:1], v[74:75] op_sel:[0,0,1] op_sel_hi:[1,0,0] neg_lo:[0,0,1] neg_hi:[0,0,1]
	v_mov_b32_e32 v78, v76
	v_mov_b32_e32 v79, v75
	v_pk_add_f32 v[68:69], v[68:69], v[78:79]
	v_pk_mul_f32 v[78:79], v[28:29], s[16:17] op_sel_hi:[1,0]
	v_pk_fma_f32 v[92:93], v[10:11], s[18:19], v[90:91] op_sel:[0,0,1] op_sel_hi:[1,0,0]
	v_pk_fma_f32 v[80:81], v[26:27], s[4:5], v[78:79] op_sel:[0,0,1] op_sel_hi:[1,0,0]
	v_pk_fma_f32 v[78:79], v[26:27], s[4:5], v[78:79] op_sel:[0,0,1] op_sel_hi:[1,0,0] neg_lo:[0,0,1] neg_hi:[0,0,1]
	v_mov_b32_e32 v82, v80
	v_mov_b32_e32 v83, v79
	v_pk_add_f32 v[68:69], v[68:69], v[82:83]
	v_pk_mul_f32 v[82:83], v[34:35], s[8:9] op_sel_hi:[1,0]
	v_pk_fma_f32 v[90:91], v[10:11], s[18:19], v[90:91] op_sel:[0,0,1] op_sel_hi:[1,0,0] neg_lo:[0,0,1] neg_hi:[0,0,1]
	v_pk_fma_f32 v[84:85], v[30:31], s[20:21], v[82:83] op_sel:[0,0,1] op_sel_hi:[1,0,0]
	v_pk_fma_f32 v[82:83], v[30:31], s[20:21], v[82:83] op_sel:[0,0,1] op_sel_hi:[1,0,0] neg_lo:[0,0,1] neg_hi:[0,0,1]
	v_mov_b32_e32 v86, v84
	v_mov_b32_e32 v87, v83
	v_pk_add_f32 v[68:69], v[68:69], v[86:87]
	global_store_dwordx2 v[0:1], v[68:69], off offset:2904
	v_pk_mul_f32 v[68:69], v[8:9], s[8:9] op_sel_hi:[1,0]
	v_mov_b32_e32 v94, v92
	v_pk_fma_f32 v[86:87], v[2:3], s[20:21], v[68:69] op_sel:[0,0,1] op_sel_hi:[1,0,0]
	v_pk_fma_f32 v[68:69], v[2:3], s[20:21], v[68:69] op_sel:[0,0,1] op_sel_hi:[1,0,0] neg_lo:[0,0,1] neg_hi:[0,0,1]
	v_mov_b32_e32 v88, v86
	v_mov_b32_e32 v89, v69
	v_pk_add_f32 v[88:89], v[6:7], v[88:89]
	v_mov_b32_e32 v95, v91
	v_pk_add_f32 v[88:89], v[88:89], v[94:95]
	v_pk_mul_f32 v[94:95], v[24:25], s[16:17] op_sel_hi:[1,0]
	v_pk_mul_f32 v[8:9], v[8:9], s[10:11] op_sel_hi:[1,0]
	v_pk_fma_f32 v[96:97], v[14:15], s[4:5], v[94:95] op_sel:[0,0,1] op_sel_hi:[1,0,0]
	v_pk_fma_f32 v[94:95], v[14:15], s[4:5], v[94:95] op_sel:[0,0,1] op_sel_hi:[1,0,0] neg_lo:[0,0,1] neg_hi:[0,0,1]
	v_mov_b32_e32 v98, v96
	v_mov_b32_e32 v99, v95
	v_pk_add_f32 v[88:89], v[88:89], v[98:99]
	v_pk_mul_f32 v[98:99], v[28:29], s[10:11] op_sel_hi:[1,0]
	v_pk_mul_f32 v[12:13], v[12:13], s[12:13] op_sel_hi:[1,0]
	v_pk_fma_f32 v[100:101], v[26:27], s[22:23], v[98:99] op_sel:[0,0,1] op_sel_hi:[1,0,0]
	v_pk_fma_f32 v[98:99], v[26:27], s[22:23], v[98:99] op_sel:[0,0,1] op_sel_hi:[1,0,0] neg_lo:[0,0,1] neg_hi:[0,0,1]
	v_mov_b32_e32 v102, v100
	v_mov_b32_e32 v103, v99
	v_pk_add_f32 v[88:89], v[88:89], v[102:103]
	v_pk_mul_f32 v[102:103], v[34:35], s[14:15] op_sel_hi:[1,0]
	v_mov_b32_e32 v69, v87
	v_pk_fma_f32 v[104:105], v[30:31], s[0:1], v[102:103] op_sel:[0,0,1] op_sel_hi:[1,0,0]
	v_pk_fma_f32 v[102:103], v[30:31], s[0:1], v[102:103] op_sel:[0,0,1] op_sel_hi:[1,0,0] neg_lo:[0,0,1] neg_hi:[0,0,1]
	v_mov_b32_e32 v106, v104
	v_mov_b32_e32 v107, v103
	v_pk_add_f32 v[88:89], v[88:89], v[106:107]
	global_store_dwordx2 v[0:1], v[88:89], off offset:3872
	v_pk_fma_f32 v[88:89], v[2:3], s[22:23], v[8:9] op_sel:[0,0,1] op_sel_hi:[1,0,0]
	v_pk_fma_f32 v[2:3], v[2:3], s[22:23], v[8:9] op_sel:[0,0,1] op_sel_hi:[1,0,0] neg_lo:[0,0,1] neg_hi:[0,0,1]
	v_mov_b32_e32 v8, v88
	v_mov_b32_e32 v9, v3
	v_pk_fma_f32 v[106:107], v[10:11], s[4:5], v[12:13] op_sel:[0,0,1] op_sel_hi:[1,0,0]
	v_pk_fma_f32 v[10:11], v[10:11], s[4:5], v[12:13] op_sel:[0,0,1] op_sel_hi:[1,0,0] neg_lo:[0,0,1] neg_hi:[0,0,1]
	v_pk_add_f32 v[8:9], v[6:7], v[8:9]
	v_mov_b32_e32 v12, v106
	v_mov_b32_e32 v13, v11
	v_pk_add_f32 v[8:9], v[8:9], v[12:13]
	v_pk_mul_f32 v[12:13], v[24:25], s[8:9] op_sel_hi:[1,0]
	v_mov_b32_e32 v3, v89
	v_pk_fma_f32 v[24:25], v[14:15], s[20:21], v[12:13] op_sel:[0,0,1] op_sel_hi:[1,0,0]
	v_pk_fma_f32 v[12:13], v[14:15], s[20:21], v[12:13] op_sel:[0,0,1] op_sel_hi:[1,0,0] neg_lo:[0,0,1] neg_hi:[0,0,1]
	v_mov_b32_e32 v14, v24
	v_mov_b32_e32 v15, v13
	v_pk_add_f32 v[8:9], v[8:9], v[14:15]
	v_pk_mul_f32 v[14:15], v[28:29], s[14:15] op_sel_hi:[1,0]
	v_pk_add_f32 v[2:3], v[6:7], v[2:3]
	v_pk_fma_f32 v[28:29], v[26:27], s[0:1], v[14:15] op_sel:[0,0,1] op_sel_hi:[1,0,0]
	v_pk_fma_f32 v[14:15], v[26:27], s[0:1], v[14:15] op_sel:[0,0,1] op_sel_hi:[1,0,0] neg_lo:[0,0,1] neg_hi:[0,0,1]
	v_mov_b32_e32 v26, v28
	v_mov_b32_e32 v27, v15
	v_pk_add_f32 v[8:9], v[8:9], v[26:27]
	v_pk_mul_f32 v[26:27], v[34:35], s[2:3] op_sel_hi:[1,0]
	v_mov_b32_e32 v11, v107
	v_pk_fma_f32 v[34:35], v[30:31], s[18:19], v[26:27] op_sel:[0,0,1] op_sel_hi:[1,0,0]
	v_pk_fma_f32 v[26:27], v[30:31], s[18:19], v[26:27] op_sel:[0,0,1] op_sel_hi:[1,0,0] neg_lo:[0,0,1] neg_hi:[0,0,1]
	v_pk_add_f32 v[2:3], v[2:3], v[10:11]
	v_mov_b32_e32 v13, v25
	v_mov_b32_e32 v30, v34
	;; [unrolled: 1-line block ×3, first 2 shown]
	v_pk_add_f32 v[2:3], v[2:3], v[12:13]
	v_mov_b32_e32 v15, v29
	v_pk_add_f32 v[8:9], v[8:9], v[30:31]
	v_add_co_u32_e32 v30, vcc, s13, v0
	v_pk_add_f32 v[2:3], v[2:3], v[14:15]
	v_mov_b32_e32 v27, v35
	v_addc_co_u32_e32 v31, vcc, 0, v1, vcc
	v_pk_add_f32 v[2:3], v[2:3], v[26:27]
	global_store_dwordx2 v[30:31], v[2:3], off offset:1712
	v_pk_add_f32 v[2:3], v[6:7], v[68:69]
	v_mov_b32_e32 v91, v93
	v_pk_add_f32 v[2:3], v[2:3], v[90:91]
	v_mov_b32_e32 v95, v97
	;; [unrolled: 2-line block ×5, first 2 shown]
	global_store_dwordx2 v[30:31], v[2:3], off offset:2680
	v_pk_add_f32 v[2:3], v[6:7], v[18:19]
	v_mov_b32_e32 v71, v73
	v_pk_add_f32 v[2:3], v[2:3], v[70:71]
	v_mov_b32_e32 v75, v77
	;; [unrolled: 2-line block ×5, first 2 shown]
	global_store_dwordx2 v[30:31], v[2:3], off offset:3648
	v_pk_add_f32 v[2:3], v[6:7], v[4:5]
	v_mov_b32_e32 v21, v23
	v_pk_add_f32 v[2:3], v[2:3], v[20:21]
	v_mov_b32_e32 v33, v39
	;; [unrolled: 2-line block ×4, first 2 shown]
	v_add_co_u32_e32 v0, vcc, 0x2000, v0
	v_pk_add_f32 v[2:3], v[2:3], v[46:47]
	s_nop 0
	v_addc_co_u32_e32 v1, vcc, 0, v1, vcc
	v_mov_b32_e32 v37, v43
	global_store_dwordx2 v[0:1], v[2:3], off offset:520
	v_pk_add_f32 v[2:3], v[6:7], v[36:37]
	v_mov_b32_e32 v49, v51
	v_pk_add_f32 v[2:3], v[2:3], v[48:49]
	v_mov_b32_e32 v53, v55
	;; [unrolled: 2-line block ×4, first 2 shown]
	v_pk_add_f32 v[2:3], v[2:3], v[60:61]
	global_store_dwordx2 v[30:31], v[8:9], off offset:744
	global_store_dwordx2 v[0:1], v[2:3], off offset:1488
.LBB0_13:
	s_endpgm
	.section	.rodata,"a",@progbits
	.p2align	6, 0x0
	.amdhsa_kernel fft_rtc_back_len1331_factors_11_11_11_wgs_242_tpt_121_halfLds_sp_ip_CI_unitstride_sbrr_dirReg
		.amdhsa_group_segment_fixed_size 0
		.amdhsa_private_segment_fixed_size 0
		.amdhsa_kernarg_size 88
		.amdhsa_user_sgpr_count 2
		.amdhsa_user_sgpr_dispatch_ptr 0
		.amdhsa_user_sgpr_queue_ptr 0
		.amdhsa_user_sgpr_kernarg_segment_ptr 1
		.amdhsa_user_sgpr_dispatch_id 0
		.amdhsa_user_sgpr_kernarg_preload_length 0
		.amdhsa_user_sgpr_kernarg_preload_offset 0
		.amdhsa_user_sgpr_private_segment_size 0
		.amdhsa_uses_dynamic_stack 0
		.amdhsa_enable_private_segment 0
		.amdhsa_system_sgpr_workgroup_id_x 1
		.amdhsa_system_sgpr_workgroup_id_y 0
		.amdhsa_system_sgpr_workgroup_id_z 0
		.amdhsa_system_sgpr_workgroup_info 0
		.amdhsa_system_vgpr_workitem_id 0
		.amdhsa_next_free_vgpr 110
		.amdhsa_next_free_sgpr 46
		.amdhsa_accum_offset 112
		.amdhsa_reserve_vcc 1
		.amdhsa_float_round_mode_32 0
		.amdhsa_float_round_mode_16_64 0
		.amdhsa_float_denorm_mode_32 3
		.amdhsa_float_denorm_mode_16_64 3
		.amdhsa_dx10_clamp 1
		.amdhsa_ieee_mode 1
		.amdhsa_fp16_overflow 0
		.amdhsa_tg_split 0
		.amdhsa_exception_fp_ieee_invalid_op 0
		.amdhsa_exception_fp_denorm_src 0
		.amdhsa_exception_fp_ieee_div_zero 0
		.amdhsa_exception_fp_ieee_overflow 0
		.amdhsa_exception_fp_ieee_underflow 0
		.amdhsa_exception_fp_ieee_inexact 0
		.amdhsa_exception_int_div_zero 0
	.end_amdhsa_kernel
	.text
.Lfunc_end0:
	.size	fft_rtc_back_len1331_factors_11_11_11_wgs_242_tpt_121_halfLds_sp_ip_CI_unitstride_sbrr_dirReg, .Lfunc_end0-fft_rtc_back_len1331_factors_11_11_11_wgs_242_tpt_121_halfLds_sp_ip_CI_unitstride_sbrr_dirReg
                                        ; -- End function
	.section	.AMDGPU.csdata,"",@progbits
; Kernel info:
; codeLenInByte = 7800
; NumSgprs: 52
; NumVgprs: 110
; NumAgprs: 0
; TotalNumVgprs: 110
; ScratchSize: 0
; MemoryBound: 0
; FloatMode: 240
; IeeeMode: 1
; LDSByteSize: 0 bytes/workgroup (compile time only)
; SGPRBlocks: 6
; VGPRBlocks: 13
; NumSGPRsForWavesPerEU: 52
; NumVGPRsForWavesPerEU: 110
; AccumOffset: 112
; Occupancy: 4
; WaveLimiterHint : 1
; COMPUTE_PGM_RSRC2:SCRATCH_EN: 0
; COMPUTE_PGM_RSRC2:USER_SGPR: 2
; COMPUTE_PGM_RSRC2:TRAP_HANDLER: 0
; COMPUTE_PGM_RSRC2:TGID_X_EN: 1
; COMPUTE_PGM_RSRC2:TGID_Y_EN: 0
; COMPUTE_PGM_RSRC2:TGID_Z_EN: 0
; COMPUTE_PGM_RSRC2:TIDIG_COMP_CNT: 0
; COMPUTE_PGM_RSRC3_GFX90A:ACCUM_OFFSET: 27
; COMPUTE_PGM_RSRC3_GFX90A:TG_SPLIT: 0
	.text
	.p2alignl 6, 3212836864
	.fill 256, 4, 3212836864
	.type	__hip_cuid_fa19d91f1daa070a,@object ; @__hip_cuid_fa19d91f1daa070a
	.section	.bss,"aw",@nobits
	.globl	__hip_cuid_fa19d91f1daa070a
__hip_cuid_fa19d91f1daa070a:
	.byte	0                               ; 0x0
	.size	__hip_cuid_fa19d91f1daa070a, 1

	.ident	"AMD clang version 19.0.0git (https://github.com/RadeonOpenCompute/llvm-project roc-6.4.0 25133 c7fe45cf4b819c5991fe208aaa96edf142730f1d)"
	.section	".note.GNU-stack","",@progbits
	.addrsig
	.addrsig_sym __hip_cuid_fa19d91f1daa070a
	.amdgpu_metadata
---
amdhsa.kernels:
  - .agpr_count:     0
    .args:
      - .actual_access:  read_only
        .address_space:  global
        .offset:         0
        .size:           8
        .value_kind:     global_buffer
      - .offset:         8
        .size:           8
        .value_kind:     by_value
      - .actual_access:  read_only
        .address_space:  global
        .offset:         16
        .size:           8
        .value_kind:     global_buffer
      - .actual_access:  read_only
        .address_space:  global
        .offset:         24
        .size:           8
        .value_kind:     global_buffer
      - .offset:         32
        .size:           8
        .value_kind:     by_value
      - .actual_access:  read_only
        .address_space:  global
        .offset:         40
        .size:           8
        .value_kind:     global_buffer
      - .actual_access:  read_only
        .address_space:  global
        .offset:         48
        .size:           8
        .value_kind:     global_buffer
      - .offset:         56
        .size:           4
        .value_kind:     by_value
      - .actual_access:  read_only
        .address_space:  global
        .offset:         64
        .size:           8
        .value_kind:     global_buffer
      - .actual_access:  read_only
        .address_space:  global
        .offset:         72
        .size:           8
        .value_kind:     global_buffer
      - .address_space:  global
        .offset:         80
        .size:           8
        .value_kind:     global_buffer
    .group_segment_fixed_size: 0
    .kernarg_segment_align: 8
    .kernarg_segment_size: 88
    .language:       OpenCL C
    .language_version:
      - 2
      - 0
    .max_flat_workgroup_size: 242
    .name:           fft_rtc_back_len1331_factors_11_11_11_wgs_242_tpt_121_halfLds_sp_ip_CI_unitstride_sbrr_dirReg
    .private_segment_fixed_size: 0
    .sgpr_count:     52
    .sgpr_spill_count: 0
    .symbol:         fft_rtc_back_len1331_factors_11_11_11_wgs_242_tpt_121_halfLds_sp_ip_CI_unitstride_sbrr_dirReg.kd
    .uniform_work_group_size: 1
    .uses_dynamic_stack: false
    .vgpr_count:     110
    .vgpr_spill_count: 0
    .wavefront_size: 64
amdhsa.target:   amdgcn-amd-amdhsa--gfx950
amdhsa.version:
  - 1
  - 2
...

	.end_amdgpu_metadata
